;; amdgpu-corpus repo=ROCm/rocFFT kind=compiled arch=gfx1201 opt=O3
	.text
	.amdgcn_target "amdgcn-amd-amdhsa--gfx1201"
	.amdhsa_code_object_version 6
	.protected	fft_rtc_fwd_len540_factors_3_10_6_3_wgs_216_tpt_54_halfLds_dp_ip_CI_sbrr_dirReg ; -- Begin function fft_rtc_fwd_len540_factors_3_10_6_3_wgs_216_tpt_54_halfLds_dp_ip_CI_sbrr_dirReg
	.globl	fft_rtc_fwd_len540_factors_3_10_6_3_wgs_216_tpt_54_halfLds_dp_ip_CI_sbrr_dirReg
	.p2align	8
	.type	fft_rtc_fwd_len540_factors_3_10_6_3_wgs_216_tpt_54_halfLds_dp_ip_CI_sbrr_dirReg,@function
fft_rtc_fwd_len540_factors_3_10_6_3_wgs_216_tpt_54_halfLds_dp_ip_CI_sbrr_dirReg: ; @fft_rtc_fwd_len540_factors_3_10_6_3_wgs_216_tpt_54_halfLds_dp_ip_CI_sbrr_dirReg
; %bb.0:
	s_clause 0x2
	s_load_b64 s[12:13], s[0:1], 0x18
	s_load_b128 s[4:7], s[0:1], 0x0
	s_load_b64 s[10:11], s[0:1], 0x50
	v_mul_u32_u24_e32 v1, 0x4be, v0
	v_mov_b32_e32 v3, 0
	s_delay_alu instid0(VALU_DEP_2) | instskip(SKIP_2) | instid1(VALU_DEP_4)
	v_lshrrev_b32_e32 v52, 16, v1
	v_mov_b32_e32 v1, 0
	v_mov_b32_e32 v2, 0
	;; [unrolled: 1-line block ×3, first 2 shown]
	s_delay_alu instid0(VALU_DEP_4) | instskip(SKIP_3) | instid1(VALU_DEP_1)
	v_lshl_add_u32 v5, ttmp9, 2, v52
	s_wait_kmcnt 0x0
	s_load_b64 s[8:9], s[12:13], 0x0
	v_cmp_lt_u64_e64 s2, s[6:7], 2
	s_and_b32 vcc_lo, exec_lo, s2
	s_cbranch_vccnz .LBB0_8
; %bb.1:
	s_load_b64 s[2:3], s[0:1], 0x10
	v_mov_b32_e32 v1, 0
	v_mov_b32_e32 v2, 0
	s_add_nc_u64 s[14:15], s[12:13], 8
	s_mov_b64 s[16:17], 1
	s_wait_kmcnt 0x0
	s_add_nc_u64 s[18:19], s[2:3], 8
	s_mov_b32 s3, 0
.LBB0_2:                                ; =>This Inner Loop Header: Depth=1
	s_load_b64 s[20:21], s[18:19], 0x0
                                        ; implicit-def: $vgpr7_vgpr8
	s_mov_b32 s2, exec_lo
	s_wait_kmcnt 0x0
	v_or_b32_e32 v4, s21, v6
	s_delay_alu instid0(VALU_DEP_1)
	v_cmpx_ne_u64_e32 0, v[3:4]
	s_wait_alu 0xfffe
	s_xor_b32 s22, exec_lo, s2
	s_cbranch_execz .LBB0_4
; %bb.3:                                ;   in Loop: Header=BB0_2 Depth=1
	s_cvt_f32_u32 s2, s20
	s_cvt_f32_u32 s23, s21
	s_sub_nc_u64 s[26:27], 0, s[20:21]
	s_wait_alu 0xfffe
	s_delay_alu instid0(SALU_CYCLE_1) | instskip(SKIP_1) | instid1(SALU_CYCLE_2)
	s_fmamk_f32 s2, s23, 0x4f800000, s2
	s_wait_alu 0xfffe
	v_s_rcp_f32 s2, s2
	s_delay_alu instid0(TRANS32_DEP_1) | instskip(SKIP_1) | instid1(SALU_CYCLE_2)
	s_mul_f32 s2, s2, 0x5f7ffffc
	s_wait_alu 0xfffe
	s_mul_f32 s23, s2, 0x2f800000
	s_wait_alu 0xfffe
	s_delay_alu instid0(SALU_CYCLE_2) | instskip(SKIP_1) | instid1(SALU_CYCLE_2)
	s_trunc_f32 s23, s23
	s_wait_alu 0xfffe
	s_fmamk_f32 s2, s23, 0xcf800000, s2
	s_cvt_u32_f32 s25, s23
	s_wait_alu 0xfffe
	s_delay_alu instid0(SALU_CYCLE_1) | instskip(SKIP_1) | instid1(SALU_CYCLE_2)
	s_cvt_u32_f32 s24, s2
	s_wait_alu 0xfffe
	s_mul_u64 s[28:29], s[26:27], s[24:25]
	s_wait_alu 0xfffe
	s_mul_hi_u32 s31, s24, s29
	s_mul_i32 s30, s24, s29
	s_mul_hi_u32 s2, s24, s28
	s_mul_i32 s33, s25, s28
	s_wait_alu 0xfffe
	s_add_nc_u64 s[30:31], s[2:3], s[30:31]
	s_mul_hi_u32 s23, s25, s28
	s_mul_hi_u32 s34, s25, s29
	s_add_co_u32 s2, s30, s33
	s_wait_alu 0xfffe
	s_add_co_ci_u32 s2, s31, s23
	s_mul_i32 s28, s25, s29
	s_add_co_ci_u32 s29, s34, 0
	s_wait_alu 0xfffe
	s_add_nc_u64 s[28:29], s[2:3], s[28:29]
	s_wait_alu 0xfffe
	v_add_co_u32 v4, s2, s24, s28
	s_delay_alu instid0(VALU_DEP_1) | instskip(SKIP_1) | instid1(VALU_DEP_1)
	s_cmp_lg_u32 s2, 0
	s_add_co_ci_u32 s25, s25, s29
	v_readfirstlane_b32 s24, v4
	s_wait_alu 0xfffe
	s_delay_alu instid0(VALU_DEP_1)
	s_mul_u64 s[26:27], s[26:27], s[24:25]
	s_wait_alu 0xfffe
	s_mul_hi_u32 s29, s24, s27
	s_mul_i32 s28, s24, s27
	s_mul_hi_u32 s2, s24, s26
	s_mul_i32 s30, s25, s26
	s_wait_alu 0xfffe
	s_add_nc_u64 s[28:29], s[2:3], s[28:29]
	s_mul_hi_u32 s23, s25, s26
	s_mul_hi_u32 s24, s25, s27
	s_wait_alu 0xfffe
	s_add_co_u32 s2, s28, s30
	s_add_co_ci_u32 s2, s29, s23
	s_mul_i32 s26, s25, s27
	s_add_co_ci_u32 s27, s24, 0
	s_wait_alu 0xfffe
	s_add_nc_u64 s[26:27], s[2:3], s[26:27]
	s_wait_alu 0xfffe
	v_add_co_u32 v4, s2, v4, s26
	s_delay_alu instid0(VALU_DEP_1) | instskip(SKIP_1) | instid1(VALU_DEP_1)
	s_cmp_lg_u32 s2, 0
	s_add_co_ci_u32 s2, s25, s27
	v_mul_hi_u32 v13, v5, v4
	s_wait_alu 0xfffe
	v_mad_co_u64_u32 v[7:8], null, v5, s2, 0
	v_mad_co_u64_u32 v[9:10], null, v6, v4, 0
	;; [unrolled: 1-line block ×3, first 2 shown]
	s_delay_alu instid0(VALU_DEP_3) | instskip(SKIP_1) | instid1(VALU_DEP_4)
	v_add_co_u32 v4, vcc_lo, v13, v7
	s_wait_alu 0xfffd
	v_add_co_ci_u32_e32 v7, vcc_lo, 0, v8, vcc_lo
	s_delay_alu instid0(VALU_DEP_2) | instskip(SKIP_1) | instid1(VALU_DEP_2)
	v_add_co_u32 v4, vcc_lo, v4, v9
	s_wait_alu 0xfffd
	v_add_co_ci_u32_e32 v4, vcc_lo, v7, v10, vcc_lo
	s_wait_alu 0xfffd
	v_add_co_ci_u32_e32 v7, vcc_lo, 0, v12, vcc_lo
	s_delay_alu instid0(VALU_DEP_2) | instskip(SKIP_1) | instid1(VALU_DEP_2)
	v_add_co_u32 v4, vcc_lo, v4, v11
	s_wait_alu 0xfffd
	v_add_co_ci_u32_e32 v9, vcc_lo, 0, v7, vcc_lo
	s_delay_alu instid0(VALU_DEP_2) | instskip(SKIP_1) | instid1(VALU_DEP_3)
	v_mul_lo_u32 v10, s21, v4
	v_mad_co_u64_u32 v[7:8], null, s20, v4, 0
	v_mul_lo_u32 v11, s20, v9
	s_delay_alu instid0(VALU_DEP_2) | instskip(NEXT) | instid1(VALU_DEP_2)
	v_sub_co_u32 v7, vcc_lo, v5, v7
	v_add3_u32 v8, v8, v11, v10
	s_delay_alu instid0(VALU_DEP_1) | instskip(SKIP_1) | instid1(VALU_DEP_1)
	v_sub_nc_u32_e32 v10, v6, v8
	s_wait_alu 0xfffd
	v_subrev_co_ci_u32_e64 v10, s2, s21, v10, vcc_lo
	v_add_co_u32 v11, s2, v4, 2
	s_wait_alu 0xf1ff
	v_add_co_ci_u32_e64 v12, s2, 0, v9, s2
	v_sub_co_u32 v13, s2, v7, s20
	v_sub_co_ci_u32_e32 v8, vcc_lo, v6, v8, vcc_lo
	s_wait_alu 0xf1ff
	v_subrev_co_ci_u32_e64 v10, s2, 0, v10, s2
	s_delay_alu instid0(VALU_DEP_3) | instskip(NEXT) | instid1(VALU_DEP_3)
	v_cmp_le_u32_e32 vcc_lo, s20, v13
	v_cmp_eq_u32_e64 s2, s21, v8
	s_wait_alu 0xfffd
	v_cndmask_b32_e64 v13, 0, -1, vcc_lo
	v_cmp_le_u32_e32 vcc_lo, s21, v10
	s_wait_alu 0xfffd
	v_cndmask_b32_e64 v14, 0, -1, vcc_lo
	v_cmp_le_u32_e32 vcc_lo, s20, v7
	;; [unrolled: 3-line block ×3, first 2 shown]
	s_wait_alu 0xfffd
	v_cndmask_b32_e64 v15, 0, -1, vcc_lo
	v_cmp_eq_u32_e32 vcc_lo, s21, v10
	s_wait_alu 0xf1ff
	s_delay_alu instid0(VALU_DEP_2)
	v_cndmask_b32_e64 v7, v15, v7, s2
	s_wait_alu 0xfffd
	v_cndmask_b32_e32 v10, v14, v13, vcc_lo
	v_add_co_u32 v13, vcc_lo, v4, 1
	s_wait_alu 0xfffd
	v_add_co_ci_u32_e32 v14, vcc_lo, 0, v9, vcc_lo
	s_delay_alu instid0(VALU_DEP_3) | instskip(SKIP_2) | instid1(VALU_DEP_3)
	v_cmp_ne_u32_e32 vcc_lo, 0, v10
	s_wait_alu 0xfffd
	v_cndmask_b32_e32 v10, v13, v11, vcc_lo
	v_cndmask_b32_e32 v8, v14, v12, vcc_lo
	v_cmp_ne_u32_e32 vcc_lo, 0, v7
	s_wait_alu 0xfffd
	s_delay_alu instid0(VALU_DEP_2)
	v_dual_cndmask_b32 v7, v4, v10 :: v_dual_cndmask_b32 v8, v9, v8
.LBB0_4:                                ;   in Loop: Header=BB0_2 Depth=1
	s_wait_alu 0xfffe
	s_and_not1_saveexec_b32 s2, s22
	s_cbranch_execz .LBB0_6
; %bb.5:                                ;   in Loop: Header=BB0_2 Depth=1
	v_cvt_f32_u32_e32 v4, s20
	s_sub_co_i32 s22, 0, s20
	s_delay_alu instid0(VALU_DEP_1) | instskip(NEXT) | instid1(TRANS32_DEP_1)
	v_rcp_iflag_f32_e32 v4, v4
	v_mul_f32_e32 v4, 0x4f7ffffe, v4
	s_delay_alu instid0(VALU_DEP_1) | instskip(SKIP_1) | instid1(VALU_DEP_1)
	v_cvt_u32_f32_e32 v4, v4
	s_wait_alu 0xfffe
	v_mul_lo_u32 v7, s22, v4
	s_delay_alu instid0(VALU_DEP_1) | instskip(NEXT) | instid1(VALU_DEP_1)
	v_mul_hi_u32 v7, v4, v7
	v_add_nc_u32_e32 v4, v4, v7
	s_delay_alu instid0(VALU_DEP_1) | instskip(NEXT) | instid1(VALU_DEP_1)
	v_mul_hi_u32 v4, v5, v4
	v_mul_lo_u32 v7, v4, s20
	v_add_nc_u32_e32 v8, 1, v4
	s_delay_alu instid0(VALU_DEP_2) | instskip(NEXT) | instid1(VALU_DEP_1)
	v_sub_nc_u32_e32 v7, v5, v7
	v_subrev_nc_u32_e32 v9, s20, v7
	v_cmp_le_u32_e32 vcc_lo, s20, v7
	s_wait_alu 0xfffd
	s_delay_alu instid0(VALU_DEP_2) | instskip(NEXT) | instid1(VALU_DEP_1)
	v_dual_cndmask_b32 v7, v7, v9 :: v_dual_cndmask_b32 v4, v4, v8
	v_cmp_le_u32_e32 vcc_lo, s20, v7
	s_delay_alu instid0(VALU_DEP_2) | instskip(SKIP_1) | instid1(VALU_DEP_1)
	v_add_nc_u32_e32 v8, 1, v4
	s_wait_alu 0xfffd
	v_dual_cndmask_b32 v7, v4, v8 :: v_dual_mov_b32 v8, v3
.LBB0_6:                                ;   in Loop: Header=BB0_2 Depth=1
	s_wait_alu 0xfffe
	s_or_b32 exec_lo, exec_lo, s2
	s_load_b64 s[22:23], s[14:15], 0x0
	s_delay_alu instid0(VALU_DEP_1)
	v_mul_lo_u32 v4, v8, s20
	v_mul_lo_u32 v11, v7, s21
	v_mad_co_u64_u32 v[9:10], null, v7, s20, 0
	s_add_nc_u64 s[16:17], s[16:17], 1
	s_add_nc_u64 s[14:15], s[14:15], 8
	s_wait_alu 0xfffe
	v_cmp_ge_u64_e64 s2, s[16:17], s[6:7]
	s_add_nc_u64 s[18:19], s[18:19], 8
	s_delay_alu instid0(VALU_DEP_2) | instskip(NEXT) | instid1(VALU_DEP_3)
	v_add3_u32 v4, v10, v11, v4
	v_sub_co_u32 v5, vcc_lo, v5, v9
	s_wait_alu 0xfffd
	s_delay_alu instid0(VALU_DEP_2) | instskip(SKIP_3) | instid1(VALU_DEP_2)
	v_sub_co_ci_u32_e32 v4, vcc_lo, v6, v4, vcc_lo
	s_and_b32 vcc_lo, exec_lo, s2
	s_wait_kmcnt 0x0
	v_mul_lo_u32 v6, s23, v5
	v_mul_lo_u32 v4, s22, v4
	v_mad_co_u64_u32 v[1:2], null, s22, v5, v[1:2]
	s_delay_alu instid0(VALU_DEP_1)
	v_add3_u32 v2, v6, v2, v4
	s_wait_alu 0xfffe
	s_cbranch_vccnz .LBB0_9
; %bb.7:                                ;   in Loop: Header=BB0_2 Depth=1
	v_dual_mov_b32 v5, v7 :: v_dual_mov_b32 v6, v8
	s_branch .LBB0_2
.LBB0_8:
	v_dual_mov_b32 v8, v6 :: v_dual_mov_b32 v7, v5
.LBB0_9:
	s_lshl_b64 s[2:3], s[6:7], 3
	v_mul_hi_u32 v3, 0x4bda130, v0
	s_wait_alu 0xfffe
	s_add_nc_u64 s[2:3], s[12:13], s[2:3]
                                        ; implicit-def: $vgpr82
                                        ; implicit-def: $vgpr83
	s_load_b64 s[2:3], s[2:3], 0x0
	s_load_b64 s[0:1], s[0:1], 0x20
	s_delay_alu instid0(VALU_DEP_1) | instskip(NEXT) | instid1(VALU_DEP_1)
	v_mul_u32_u24_e32 v3, 54, v3
	v_sub_nc_u32_e32 v74, v0, v3
	s_delay_alu instid0(VALU_DEP_1)
	v_add_nc_u32_e32 v76, 54, v74
	v_add_nc_u32_e32 v75, 0x6c, v74
	s_wait_kmcnt 0x0
	v_mul_lo_u32 v4, s2, v8
	v_mul_lo_u32 v5, s3, v7
	v_mad_co_u64_u32 v[1:2], null, s2, v7, v[1:2]
	v_cmp_gt_u64_e32 vcc_lo, s[0:1], v[7:8]
	v_cmp_le_u64_e64 s0, s[0:1], v[7:8]
	s_delay_alu instid0(VALU_DEP_3) | instskip(NEXT) | instid1(VALU_DEP_2)
	v_add3_u32 v2, v5, v2, v4
	s_and_saveexec_b32 s1, s0
	s_wait_alu 0xfffe
	s_xor_b32 s0, exec_lo, s1
; %bb.10:
	v_add_nc_u32_e32 v82, 54, v74
	v_add_nc_u32_e32 v83, 0x6c, v74
; %bb.11:
	s_wait_alu 0xfffe
	s_or_saveexec_b32 s1, s0
	v_lshlrev_b64_e32 v[50:51], 4, v[1:2]
	v_add_nc_u32_e32 v79, 0xb4, v74
	v_add_nc_u32_e32 v80, 0x168, v74
	v_add_nc_u32_e32 v77, 0xea, v74
	v_add_nc_u32_e32 v78, 0x19e, v74
                                        ; implicit-def: $vgpr40_vgpr41
                                        ; implicit-def: $vgpr32_vgpr33
                                        ; implicit-def: $vgpr28_vgpr29
                                        ; implicit-def: $vgpr24_vgpr25
                                        ; implicit-def: $vgpr44_vgpr45
                                        ; implicit-def: $vgpr36_vgpr37
                                        ; implicit-def: $vgpr20_vgpr21
                                        ; implicit-def: $vgpr48_vgpr49
                                        ; implicit-def: $vgpr16_vgpr17
                                        ; implicit-def: $vgpr12_vgpr13
                                        ; implicit-def: $vgpr8_vgpr9
                                        ; implicit-def: $vgpr4_vgpr5
	s_wait_alu 0xfffe
	s_xor_b32 exec_lo, exec_lo, s1
	s_cbranch_execz .LBB0_15
; %bb.12:
	v_mad_co_u64_u32 v[2:3], null, s8, v74, 0
	v_mad_co_u64_u32 v[4:5], null, s8, v79, 0
	;; [unrolled: 1-line block ×4, first 2 shown]
	s_delay_alu instid0(VALU_DEP_4) | instskip(SKIP_4) | instid1(VALU_DEP_3)
	v_mov_b32_e32 v0, v3
	v_mad_co_u64_u32 v[18:19], null, s8, v77, 0
	v_mov_b32_e32 v1, v5
	v_mad_co_u64_u32 v[20:21], null, s8, v78, 0
	v_mad_co_u64_u32 v[22:23], null, s8, v75, 0
	;; [unrolled: 1-line block ×3, first 2 shown]
	v_dual_mov_b32 v0, v7 :: v_dual_mov_b32 v7, v11
	v_mad_co_u64_u32 v[11:12], null, s9, v79, v[1:2]
	v_add_nc_u32_e32 v30, 0x120, v74
	s_delay_alu instid0(VALU_DEP_3)
	v_mad_co_u64_u32 v[12:13], null, s9, v80, v[0:1]
	v_mov_b32_e32 v3, v8
	v_mad_co_u64_u32 v[13:14], null, s9, v76, v[7:8]
	v_mov_b32_e32 v5, v11
	v_add_co_u32 v0, s0, s10, v50
	v_dual_mov_b32 v7, v12 :: v_dual_mov_b32 v12, v19
	v_lshlrev_b64_e32 v[2:3], 4, v[2:3]
	s_wait_alu 0xf1ff
	v_add_co_ci_u32_e64 v1, s0, s11, v51, s0
	v_lshlrev_b64_e32 v[4:5], 4, v[4:5]
	v_lshlrev_b64_e32 v[14:15], 4, v[6:7]
	v_mov_b32_e32 v11, v13
	v_add_co_u32 v2, s0, v0, v2
	s_wait_alu 0xf1ff
	v_add_co_ci_u32_e64 v3, s0, v1, v3, s0
	v_add_co_u32 v8, s0, v0, v4
	s_wait_alu 0xf1ff
	v_add_co_ci_u32_e64 v9, s0, v1, v5, s0
	v_add_co_u32 v13, s0, v0, v14
	v_lshlrev_b64_e32 v[10:11], 4, v[10:11]
	s_wait_alu 0xf1ff
	v_add_co_ci_u32_e64 v14, s0, v1, v15, s0
	s_delay_alu instid0(VALU_DEP_3) | instskip(SKIP_1) | instid1(VALU_DEP_4)
	v_mad_co_u64_u32 v[15:16], null, s9, v77, v[12:13]
	v_add_nc_u32_e32 v31, 0x1d4, v74
	v_add_co_u32 v16, s0, v0, v10
	s_wait_alu 0xf1ff
	v_add_co_ci_u32_e64 v17, s0, v1, v11, s0
	v_dual_mov_b32 v10, v21 :: v_dual_mov_b32 v11, v23
	v_mad_co_u64_u32 v[24:25], null, s8, v30, 0
	v_mov_b32_e32 v19, v15
	s_clause 0x1
	global_load_b128 v[2:5], v[2:3], off
	global_load_b128 v[6:9], v[8:9], off
	v_mad_co_u64_u32 v[26:27], null, s9, v78, v[10:11]
	v_mad_co_u64_u32 v[27:28], null, s9, v75, v[11:12]
	;; [unrolled: 1-line block ×3, first 2 shown]
	v_lshlrev_b64_e32 v[18:19], 4, v[18:19]
	s_clause 0x1
	global_load_b128 v[10:13], v[13:14], off
	global_load_b128 v[14:17], v[16:17], off
	v_mov_b32_e32 v21, v26
	v_mad_co_u64_u32 v[25:26], null, s9, v30, v[25:26]
	v_dual_mov_b32 v23, v27 :: v_dual_mov_b32 v26, v29
	s_delay_alu instid0(VALU_DEP_3) | instskip(SKIP_1) | instid1(VALU_DEP_3)
	v_lshlrev_b64_e32 v[20:21], 4, v[20:21]
	v_add_co_u32 v18, s0, v0, v18
	v_lshlrev_b64_e32 v[22:23], 4, v[22:23]
	s_delay_alu instid0(VALU_DEP_4)
	v_mad_co_u64_u32 v[26:27], null, s9, v31, v[26:27]
	s_wait_alu 0xf1ff
	v_add_co_ci_u32_e64 v19, s0, v1, v19, s0
	v_add_co_u32 v20, s0, v0, v20
	v_lshlrev_b64_e32 v[24:25], 4, v[24:25]
	s_wait_alu 0xf1ff
	v_add_co_ci_u32_e64 v21, s0, v1, v21, s0
	v_mov_b32_e32 v29, v26
	v_add_co_u32 v22, s0, v0, v22
	s_wait_alu 0xf1ff
	v_add_co_ci_u32_e64 v23, s0, v1, v23, s0
	s_delay_alu instid0(VALU_DEP_3) | instskip(SKIP_4) | instid1(VALU_DEP_3)
	v_lshlrev_b64_e32 v[26:27], 4, v[28:29]
	v_add_co_u32 v24, s0, v0, v24
	s_wait_alu 0xf1ff
	v_add_co_ci_u32_e64 v25, s0, v1, v25, s0
	s_mov_b32 s2, exec_lo
	v_add_co_u32 v26, s0, v0, v26
	s_wait_alu 0xf1ff
	v_add_co_ci_u32_e64 v27, s0, v1, v27, s0
	s_clause 0x4
	global_load_b128 v[46:49], v[18:19], off
	global_load_b128 v[18:21], v[20:21], off
	;; [unrolled: 1-line block ×5, first 2 shown]
                                        ; implicit-def: $vgpr26_vgpr27
                                        ; implicit-def: $vgpr30_vgpr31
                                        ; implicit-def: $vgpr38_vgpr39
	v_cmpx_gt_u32_e32 18, v74
	s_cbranch_execz .LBB0_14
; %bb.13:
	v_add_nc_u32_e32 v38, 0x156, v74
	v_add_nc_u32_e32 v40, 0x20a, v74
	s_delay_alu instid0(VALU_DEP_2) | instskip(NEXT) | instid1(VALU_DEP_2)
	v_mad_co_u64_u32 v[28:29], null, s8, v38, 0
	v_mad_co_u64_u32 v[30:31], null, s8, v40, 0
	s_delay_alu instid0(VALU_DEP_1) | instskip(NEXT) | instid1(VALU_DEP_1)
	v_mad_co_u64_u32 v[38:39], null, s9, v38, v[29:30]
	v_dual_mov_b32 v29, v38 :: v_dual_add_nc_u32 v32, 0xa2, v74
	s_delay_alu instid0(VALU_DEP_1) | instskip(NEXT) | instid1(VALU_DEP_1)
	v_mad_co_u64_u32 v[26:27], null, s8, v32, 0
	v_mad_co_u64_u32 v[32:33], null, s9, v32, v[27:28]
	s_delay_alu instid0(VALU_DEP_3) | instskip(NEXT) | instid1(VALU_DEP_2)
	v_lshlrev_b64_e32 v[28:29], 4, v[28:29]
	v_mad_co_u64_u32 v[39:40], null, s9, v40, v[31:32]
	v_mov_b32_e32 v27, v32
	s_delay_alu instid0(VALU_DEP_1) | instskip(NEXT) | instid1(VALU_DEP_3)
	v_lshlrev_b64_e32 v[26:27], 4, v[26:27]
	v_mov_b32_e32 v31, v39
	s_delay_alu instid0(VALU_DEP_2) | instskip(NEXT) | instid1(VALU_DEP_2)
	v_add_co_u32 v26, s0, v0, v26
	v_lshlrev_b64_e32 v[30:31], 4, v[30:31]
	s_wait_alu 0xf1ff
	s_delay_alu instid0(VALU_DEP_4)
	v_add_co_ci_u32_e64 v27, s0, v1, v27, s0
	v_add_co_u32 v32, s0, v0, v28
	s_wait_alu 0xf1ff
	v_add_co_ci_u32_e64 v33, s0, v1, v29, s0
	v_add_co_u32 v0, s0, v0, v30
	s_wait_alu 0xf1ff
	v_add_co_ci_u32_e64 v1, s0, v1, v31, s0
	s_clause 0x2
	global_load_b128 v[26:29], v[26:27], off
	global_load_b128 v[30:33], v[32:33], off
	;; [unrolled: 1-line block ×3, first 2 shown]
.LBB0_14:
	s_wait_alu 0xfffe
	s_or_b32 exec_lo, exec_lo, s2
	v_dual_mov_b32 v83, v75 :: v_dual_mov_b32 v82, v76
.LBB0_15:
	s_or_b32 exec_lo, exec_lo, s1
	s_wait_loadcnt 0x6
	v_add_f64_e32 v[0:1], v[10:11], v[6:7]
	s_wait_loadcnt 0x3
	v_add_f64_e32 v[53:54], v[18:19], v[46:47]
	;; [unrolled: 2-line block ×3, first 2 shown]
	v_add_f64_e32 v[57:58], v[38:39], v[30:31]
	v_add_f64_e32 v[59:60], v[6:7], v[2:3]
	v_add_f64_e64 v[61:62], v[8:9], -v[12:13]
	v_add_f64_e32 v[63:64], v[46:47], v[14:15]
	v_add_f64_e32 v[65:66], v[42:43], v[34:35]
	s_mov_b32 s2, 0xe8584caa
	s_mov_b32 s3, 0x3febb67a
	;; [unrolled: 1-line block ×3, first 2 shown]
	s_wait_alu 0xfffe
	s_mov_b32 s6, s2
	v_cmp_gt_u32_e64 s0, 18, v74
	v_fma_f64 v[0:1], v[0:1], -0.5, v[2:3]
	v_add_f64_e64 v[2:3], v[48:49], -v[20:21]
	v_fma_f64 v[14:15], v[53:54], -0.5, v[14:15]
	v_add_f64_e64 v[53:54], v[44:45], -v[24:25]
	;; [unrolled: 2-line block ×3, first 2 shown]
	v_fma_f64 v[57:58], v[57:58], -0.5, v[26:27]
	v_add_f64_e32 v[59:60], v[10:11], v[59:60]
	v_add_f64_e32 v[63:64], v[18:19], v[63:64]
	;; [unrolled: 1-line block ×3, first 2 shown]
	v_fma_f64 v[67:68], v[61:62], s[2:3], v[0:1]
	s_wait_alu 0xfffe
	v_fma_f64 v[61:62], v[61:62], s[6:7], v[0:1]
	v_fma_f64 v[69:70], v[2:3], s[2:3], v[14:15]
	;; [unrolled: 1-line block ×7, first 2 shown]
	v_and_b32_e32 v0, 3, v52
	v_mad_u32_u24 v15, v74, 24, 0
	v_mad_i32_i24 v1, v83, 24, 0
	s_delay_alu instid0(VALU_DEP_3) | instskip(SKIP_1) | instid1(VALU_DEP_2)
	v_mul_u32_u24_e32 v14, 0x21c, v0
	v_mad_i32_i24 v0, v82, 24, 0
	v_lshlrev_b32_e32 v84, 3, v14
	s_delay_alu instid0(VALU_DEP_1) | instskip(NEXT) | instid1(VALU_DEP_3)
	v_add_nc_u32_e32 v54, v15, v84
	v_add_nc_u32_e32 v52, v0, v84
	;; [unrolled: 1-line block ×3, first 2 shown]
	ds_store_2addr_b64 v54, v[59:60], v[67:68] offset1:1
	ds_store_b64 v54, v[61:62] offset:16
	ds_store_2addr_b64 v52, v[63:64], v[69:70] offset1:1
	ds_store_b64 v52, v[71:72] offset:16
	;; [unrolled: 2-line block ×3, first 2 shown]
	s_and_saveexec_b32 s1, s0
	s_cbranch_execz .LBB0_17
; %bb.16:
	v_add_f64_e32 v[26:27], v[30:31], v[26:27]
	v_lshl_add_u32 v14, v14, 3, v15
	s_delay_alu instid0(VALU_DEP_1) | instskip(NEXT) | instid1(VALU_DEP_3)
	v_add_nc_u32_e32 v15, 0xf30, v14
	v_add_f64_e32 v[26:27], v[38:39], v[26:27]
	ds_store_2addr_b64 v15, v[26:27], v[2:3] offset1:1
	ds_store_b64 v14, v[34:35] offset:3904
.LBB0_17:
	s_wait_alu 0xfffe
	s_or_b32 exec_lo, exec_lo, s1
	v_add_f64_e32 v[14:15], v[12:13], v[8:9]
	v_add_f64_e32 v[26:27], v[20:21], v[48:49]
	;; [unrolled: 1-line block ×5, first 2 shown]
	v_add_f64_e64 v[6:7], v[6:7], -v[10:11]
	v_add_f64_e32 v[10:11], v[48:49], v[16:17]
	v_add_f64_e32 v[44:45], v[44:45], v[36:37]
	global_wb scope:SCOPE_SE
	s_wait_dscnt 0x0
	s_barrier_signal -1
	s_barrier_wait -1
	global_inv scope:SCOPE_SE
	v_add_nc_u32_e32 v81, 0xa2, v74
	v_fma_f64 v[4:5], v[14:15], -0.5, v[4:5]
	v_fma_f64 v[16:17], v[26:27], -0.5, v[16:17]
	v_add_f64_e64 v[26:27], v[30:31], -v[38:39]
	v_fma_f64 v[30:31], v[57:58], -0.5, v[28:29]
	v_add_f64_e64 v[14:15], v[46:47], -v[18:19]
	v_add_f64_e64 v[18:19], v[42:43], -v[22:23]
	v_fma_f64 v[22:23], v[55:56], -0.5, v[36:37]
	v_lshlrev_b32_e32 v39, 3, v74
	v_add_f64_e32 v[42:43], v[12:13], v[8:9]
	v_add_f64_e32 v[24:25], v[24:25], v[44:45]
	v_lshlrev_b32_e32 v38, 4, v82
	v_add_f64_e32 v[46:47], v[20:21], v[10:11]
	v_add3_u32 v85, 0, v39, v84
	v_add3_u32 v86, 0, v84, v39
	s_delay_alu instid0(VALU_DEP_4) | instskip(NEXT) | instid1(VALU_DEP_3)
	v_sub_nc_u32_e32 v0, v0, v38
	v_add_nc_u32_e32 v38, 0x800, v85
	s_delay_alu instid0(VALU_DEP_2)
	v_add_nc_u32_e32 v87, v0, v84
	v_fma_f64 v[44:45], v[6:7], s[6:7], v[4:5]
	v_fma_f64 v[48:49], v[6:7], s[2:3], v[4:5]
	v_lshlrev_b32_e32 v4, 4, v83
	v_fma_f64 v[6:7], v[26:27], s[6:7], v[30:31]
	v_fma_f64 v[36:37], v[26:27], s[2:3], v[30:31]
	;; [unrolled: 1-line block ×6, first 2 shown]
	v_sub_nc_u32_e32 v1, v1, v4
	s_delay_alu instid0(VALU_DEP_1)
	v_add_nc_u32_e32 v88, v1, v84
	ds_load_2addr_b64 v[8:11], v85 offset0:162 offset1:216
	ds_load_2addr_b64 v[12:15], v38 offset0:14 offset1:68
	;; [unrolled: 1-line block ×3, first 2 shown]
	ds_load_b64 v[0:1], v86
	ds_load_b64 v[20:21], v87
	;; [unrolled: 1-line block ×3, first 2 shown]
	ds_load_b64 v[22:23], v85 offset:3888
	global_wb scope:SCOPE_SE
	s_wait_dscnt 0x0
	s_barrier_signal -1
	s_barrier_wait -1
	global_inv scope:SCOPE_SE
	ds_store_2addr_b64 v54, v[42:43], v[44:45] offset1:1
	ds_store_b64 v54, v[48:49] offset:16
	ds_store_2addr_b64 v52, v[46:47], v[55:56] offset1:1
	ds_store_b64 v52, v[57:58] offset:16
	;; [unrolled: 2-line block ×3, first 2 shown]
	s_and_saveexec_b32 s1, s0
	s_cbranch_execz .LBB0_19
; %bb.18:
	v_add_f64_e32 v[24:25], v[32:33], v[28:29]
	v_mul_u32_u24_e32 v26, 24, v81
	s_delay_alu instid0(VALU_DEP_1) | instskip(NEXT) | instid1(VALU_DEP_3)
	v_add3_u32 v26, 0, v26, v84
	v_add_f64_e32 v[24:25], v[40:41], v[24:25]
	ds_store_2addr_b64 v26, v[24:25], v[6:7] offset1:1
	ds_store_b64 v26, v[36:37] offset:16
.LBB0_19:
	s_wait_alu 0xfffe
	s_or_b32 exec_lo, exec_lo, s1
	v_and_b32_e32 v24, 0xff, v74
	global_wb scope:SCOPE_SE
	s_wait_dscnt 0x0
	s_barrier_signal -1
	s_barrier_wait -1
	global_inv scope:SCOPE_SE
	v_mul_lo_u16 v24, 0xab, v24
	s_mov_b32 s16, 0x134454ff
	s_mov_b32 s17, 0x3fee6f0e
	;; [unrolled: 1-line block ×3, first 2 shown]
	s_wait_alu 0xfffe
	s_mov_b32 s2, s16
	v_lshrrev_b16 v39, 9, v24
	s_mov_b32 s12, 0x4755a5e
	s_mov_b32 s13, 0x3fe2cf23
	;; [unrolled: 1-line block ×4, first 2 shown]
	v_mul_lo_u16 v24, v39, 3
	s_mov_b32 s14, 0x372fe950
	s_mov_b32 s15, 0x3fd3c6ef
	;; [unrolled: 1-line block ×4, first 2 shown]
	v_sub_nc_u16 v24, v74, v24
	v_cmp_gt_u32_e64 s1, 36, v74
	s_delay_alu instid0(VALU_DEP_2) | instskip(NEXT) | instid1(VALU_DEP_1)
	v_and_b32_e32 v40, 0xff, v24
	v_mul_u32_u24_e32 v24, 9, v40
	s_delay_alu instid0(VALU_DEP_1)
	v_lshlrev_b32_e32 v28, 4, v24
	s_clause 0x8
	global_load_b128 v[24:27], v28, s[4:5] offset:128
	global_load_b128 v[30:33], v28, s[4:5] offset:32
	global_load_b128 v[41:44], v28, s[4:5] offset:64
	global_load_b128 v[45:48], v28, s[4:5] offset:96
	global_load_b128 v[52:55], v28, s[4:5]
	global_load_b128 v[58:61], v28, s[4:5] offset:16
	global_load_b128 v[62:65], v28, s[4:5] offset:48
	;; [unrolled: 1-line block ×4, first 2 shown]
	ds_load_b64 v[28:29], v85 offset:3888
	ds_load_2addr_b64 v[89:92], v85 offset0:162 offset1:216
	ds_load_2addr_b64 v[93:96], v38 offset0:14 offset1:68
	;; [unrolled: 1-line block ×3, first 2 shown]
	ds_load_b64 v[101:102], v88
	s_wait_loadcnt_dscnt 0x804
	v_mul_f64_e32 v[56:57], v[28:29], v[26:27]
	v_mul_f64_e32 v[103:104], v[22:23], v[26:27]
	s_wait_loadcnt 0x6
	v_mul_f64_e32 v[107:108], v[12:13], v[43:44]
	s_wait_loadcnt 0x5
	v_mul_f64_e32 v[109:110], v[16:17], v[47:48]
	s_wait_dscnt 0x3
	v_mul_f64_e32 v[105:106], v[89:90], v[32:33]
	v_mul_f64_e32 v[32:33], v[8:9], v[32:33]
	s_wait_dscnt 0x2
	v_mul_f64_e32 v[43:44], v[93:94], v[43:44]
	s_wait_dscnt 0x1
	v_mul_f64_e32 v[47:48], v[97:98], v[47:48]
	ds_load_b64 v[111:112], v87
	ds_load_b64 v[26:27], v86
	global_wb scope:SCOPE_SE
	s_wait_loadcnt_dscnt 0x0
	s_barrier_signal -1
	s_barrier_wait -1
	global_inv scope:SCOPE_SE
	v_mul_f64_e32 v[113:114], v[111:112], v[54:55]
	v_mul_f64_e32 v[54:55], v[20:21], v[54:55]
	v_fma_f64 v[115:116], v[22:23], v[24:25], -v[56:57]
	v_fma_f64 v[22:23], v[28:29], v[24:25], v[103:104]
	v_fma_f64 v[28:29], v[93:94], v[41:42], v[107:108]
	;; [unrolled: 1-line block ×3, first 2 shown]
	v_fma_f64 v[8:9], v[8:9], v[30:31], -v[105:106]
	v_fma_f64 v[30:31], v[89:90], v[30:31], v[32:33]
	v_fma_f64 v[12:13], v[12:13], v[41:42], -v[43:44]
	v_fma_f64 v[16:17], v[16:17], v[45:46], -v[47:48]
	v_mul_f64_e32 v[44:45], v[91:92], v[64:65]
	v_mul_f64_e32 v[46:47], v[95:96], v[68:69]
	;; [unrolled: 1-line block ×8, first 2 shown]
	v_fma_f64 v[89:90], v[20:21], v[52:53], -v[113:114]
	v_fma_f64 v[42:43], v[111:112], v[52:53], v[54:55]
	v_add_f64_e32 v[20:21], v[28:29], v[24:25]
	v_add_f64_e32 v[93:94], v[8:9], v[115:116]
	;; [unrolled: 1-line block ×4, first 2 shown]
	v_fma_f64 v[44:45], v[10:11], v[62:63], -v[44:45]
	v_fma_f64 v[46:47], v[14:15], v[66:67], -v[46:47]
	;; [unrolled: 1-line block ×3, first 2 shown]
	v_add_f64_e64 v[18:19], v[8:9], -v[115:116]
	v_fma_f64 v[54:55], v[4:5], v[58:59], -v[32:33]
	v_add_f64_e64 v[14:15], v[28:29], -v[24:25]
	v_add_f64_e64 v[32:33], v[12:13], -v[16:17]
	;; [unrolled: 1-line block ×3, first 2 shown]
	v_fma_f64 v[48:49], v[101:102], v[58:59], v[60:61]
	v_fma_f64 v[4:5], v[99:100], v[70:71], v[72:73]
	v_add_f64_e64 v[58:59], v[8:9], -v[12:13]
	v_add_f64_e64 v[60:61], v[115:116], -v[16:17]
	;; [unrolled: 1-line block ×4, first 2 shown]
	v_fma_f64 v[103:104], v[20:21], -0.5, v[42:43]
	v_fma_f64 v[93:94], v[93:94], -0.5, v[89:90]
	;; [unrolled: 1-line block ×3, first 2 shown]
	v_fma_f64 v[52:53], v[91:92], v[62:63], v[64:65]
	v_fma_f64 v[97:98], v[97:98], -0.5, v[89:90]
	v_fma_f64 v[20:21], v[95:96], v[66:67], v[68:69]
	v_add_f64_e32 v[62:63], v[44:45], v[46:47]
	v_add_f64_e64 v[66:67], v[12:13], -v[8:9]
	v_add_f64_e64 v[68:69], v[16:17], -v[115:116]
	v_add_f64_e32 v[64:65], v[54:55], v[56:57]
	v_add_f64_e64 v[91:92], v[28:29], -v[30:31]
	v_add_f64_e64 v[95:96], v[24:25], -v[22:23]
	v_add_f64_e32 v[8:9], v[89:90], v[8:9]
	v_add_f64_e32 v[89:90], v[0:1], v[54:55]
	v_add_f64_e64 v[111:112], v[48:49], -v[4:5]
	v_add_f64_e32 v[117:118], v[58:59], v[60:61]
	s_wait_alu 0xfffe
	v_fma_f64 v[99:100], v[18:19], s[2:3], v[103:104]
	v_fma_f64 v[107:108], v[14:15], s[16:17], v[93:94]
	;; [unrolled: 1-line block ×5, first 2 shown]
	v_fma_f64 v[58:59], v[62:63], -0.5, v[0:1]
	v_fma_f64 v[62:63], v[14:15], s[2:3], v[93:94]
	v_add_f64_e32 v[66:67], v[66:67], v[68:69]
	v_add_f64_e32 v[68:69], v[70:71], v[72:73]
	v_add_f64_e64 v[113:114], v[52:53], -v[20:21]
	v_fma_f64 v[0:1], v[64:65], -0.5, v[0:1]
	v_add_f64_e32 v[91:92], v[91:92], v[95:96]
	v_fma_f64 v[64:65], v[18:19], s[16:17], v[103:104]
	v_fma_f64 v[70:71], v[32:33], s[2:3], v[105:106]
	v_add_f64_e32 v[89:90], v[89:90], v[44:45]
	v_add_f64_e32 v[8:9], v[8:9], v[12:13]
	v_add_f64_e64 v[103:104], v[44:45], -v[54:55]
	v_add_f64_e64 v[105:106], v[46:47], -v[56:57]
	v_fma_f64 v[72:73], v[32:33], s[6:7], v[99:100]
	v_fma_f64 v[95:96], v[10:11], s[6:7], v[107:108]
	;; [unrolled: 1-line block ×3, first 2 shown]
	v_add_f64_e64 v[99:100], v[54:55], -v[44:45]
	v_fma_f64 v[97:98], v[14:15], s[6:7], v[109:110]
	v_add_f64_e64 v[101:102], v[56:57], -v[46:47]
	v_fma_f64 v[12:13], v[111:112], s[16:17], v[58:59]
	v_fma_f64 v[14:15], v[14:15], s[12:13], v[60:61]
	;; [unrolled: 1-line block ×8, first 2 shown]
	v_add_f64_e32 v[89:90], v[89:90], v[46:47]
	v_add_f64_e32 v[8:9], v[8:9], v[16:17]
	v_fma_f64 v[62:63], v[68:69], s[14:15], v[72:73]
	v_fma_f64 v[60:61], v[66:67], s[14:15], v[95:96]
	v_fma_f64 v[64:65], v[91:92], s[14:15], v[93:94]
	v_add_f64_e32 v[95:96], v[103:104], v[105:106]
	v_fma_f64 v[58:59], v[117:118], s[14:15], v[97:98]
	v_add_f64_e32 v[93:94], v[99:100], v[101:102]
	v_fma_f64 v[12:13], v[113:114], s[12:13], v[12:13]
	v_fma_f64 v[72:73], v[117:118], s[14:15], v[14:15]
	;; [unrolled: 1-line block ×8, first 2 shown]
	v_add_f64_e32 v[89:90], v[89:90], v[56:57]
	v_add_f64_e32 v[8:9], v[8:9], v[115:116]
	v_mul_f64_e32 v[10:11], s[12:13], v[62:63]
	v_mul_f64_e32 v[18:19], s[14:15], v[60:61]
	;; [unrolled: 1-line block ×4, first 2 shown]
	v_fma_f64 v[12:13], v[93:94], s[14:15], v[12:13]
	v_fma_f64 v[16:17], v[93:94], s[14:15], v[16:17]
	;; [unrolled: 1-line block ×4, first 2 shown]
	v_add_f64_e32 v[95:96], v[89:90], v[8:9]
	v_add_f64_e64 v[97:98], v[89:90], -v[8:9]
	v_fma_f64 v[10:11], v[72:73], s[18:19], v[10:11]
	v_fma_f64 v[18:19], v[68:69], s[16:17], -v[18:19]
	v_fma_f64 v[14:15], v[70:71], s[14:15], v[14:15]
	v_fma_f64 v[93:94], v[66:67], s[12:13], -v[32:33]
	s_delay_alu instid0(VALU_DEP_4) | instskip(NEXT) | instid1(VALU_DEP_4)
	v_add_f64_e32 v[99:100], v[12:13], v[10:11]
	v_add_f64_e32 v[103:104], v[0:1], v[18:19]
	s_delay_alu instid0(VALU_DEP_4)
	v_add_f64_e32 v[101:102], v[91:92], v[14:15]
	v_add_f64_e64 v[32:33], v[12:13], -v[10:11]
	v_add_f64_e32 v[105:106], v[16:17], v[93:94]
	v_add_f64_e64 v[8:9], v[91:92], -v[14:15]
	v_add_f64_e64 v[10:11], v[0:1], -v[18:19]
	;; [unrolled: 1-line block ×3, first 2 shown]
	v_and_b32_e32 v12, 0xffff, v39
	v_lshlrev_b32_e32 v13, 3, v40
	s_delay_alu instid0(VALU_DEP_2) | instskip(NEXT) | instid1(VALU_DEP_1)
	v_mad_u32_u24 v12, 0xf0, v12, 0
	v_add3_u32 v89, v12, v13, v84
	ds_store_2addr_b64 v89, v[95:96], v[99:100] offset1:3
	ds_store_2addr_b64 v89, v[101:102], v[103:104] offset0:6 offset1:9
	ds_store_2addr_b64 v89, v[105:106], v[97:98] offset0:12 offset1:15
	;; [unrolled: 1-line block ×4, first 2 shown]
	global_wb scope:SCOPE_SE
	s_wait_dscnt 0x0
	s_barrier_signal -1
	s_barrier_wait -1
	global_inv scope:SCOPE_SE
	ds_load_2addr_b64 v[12:15], v85 offset0:90 offset1:180
	ds_load_2addr_b64 v[16:19], v38 offset0:14 offset1:104
	ds_load_b64 v[38:39], v86
	ds_load_b64 v[40:41], v85 offset:3600
	s_and_saveexec_b32 s20, s1
	s_cbranch_execz .LBB0_21
; %bb.20:
	v_add_nc_u32_e32 v0, 0x800, v85
	ds_load_2addr_b64 v[8:11], v85 offset0:144 offset1:234
	ds_load_2addr_b64 v[0:3], v0 offset0:68 offset1:158
	ds_load_b64 v[32:33], v87
	ds_load_b64 v[34:35], v85 offset:4032
.LBB0_21:
	s_wait_alu 0xfffe
	s_or_b32 exec_lo, exec_lo, s20
	v_add_f64_e32 v[90:91], v[52:53], v[20:21]
	v_add_f64_e32 v[92:93], v[48:49], v[4:5]
	;; [unrolled: 1-line block ×3, first 2 shown]
	v_add_f64_e64 v[54:55], v[54:55], -v[56:57]
	v_add_f64_e32 v[30:31], v[42:43], v[30:31]
	v_add_f64_e64 v[42:43], v[44:45], -v[46:47]
	v_add_f64_e64 v[46:47], v[48:49], -v[52:53]
	;; [unrolled: 1-line block ×4, first 2 shown]
	v_mul_f64_e32 v[72:73], s[6:7], v[72:73]
	v_mul_f64_e32 v[70:71], s[2:3], v[70:71]
	;; [unrolled: 1-line block ×4, first 2 shown]
	global_wb scope:SCOPE_SE
	s_wait_dscnt 0x0
	s_barrier_signal -1
	s_barrier_wait -1
	global_inv scope:SCOPE_SE
	v_fma_f64 v[44:45], v[90:91], -0.5, v[26:27]
	v_fma_f64 v[26:27], v[92:93], -0.5, v[26:27]
	v_add_f64_e32 v[52:53], v[94:95], v[52:53]
	v_add_f64_e32 v[28:29], v[30:31], v[28:29]
	v_add_f64_e64 v[30:31], v[20:21], -v[4:5]
	v_add_f64_e32 v[46:47], v[46:47], v[56:57]
	v_fma_f64 v[90:91], v[54:55], s[2:3], v[44:45]
	v_fma_f64 v[92:93], v[42:43], s[16:17], v[26:27]
	;; [unrolled: 1-line block ×4, first 2 shown]
	v_add_f64_e32 v[20:21], v[52:53], v[20:21]
	v_add_f64_e32 v[24:25], v[28:29], v[24:25]
	;; [unrolled: 1-line block ×3, first 2 shown]
	v_fma_f64 v[52:53], v[64:65], s[14:15], v[70:71]
	v_fma_f64 v[30:31], v[42:43], s[6:7], v[90:91]
	;; [unrolled: 1-line block ×6, first 2 shown]
	v_add_f64_e32 v[4:5], v[20:21], v[4:5]
	v_add_f64_e32 v[20:21], v[24:25], v[22:23]
	v_fma_f64 v[54:55], v[60:61], s[2:3], -v[68:69]
	v_fma_f64 v[24:25], v[58:59], s[6:7], -v[66:67]
	v_fma_f64 v[22:23], v[46:47], s[14:15], v[30:31]
	v_fma_f64 v[30:31], v[28:29], s[14:15], v[48:49]
	;; [unrolled: 1-line block ×4, first 2 shown]
	v_add_nc_u32_e32 v48, 0x800, v85
	v_add_f64_e32 v[46:47], v[4:5], v[20:21]
	v_add_f64_e64 v[56:57], v[4:5], -v[20:21]
	v_add_f64_e32 v[58:59], v[22:23], v[44:45]
	v_add_f64_e32 v[60:61], v[30:31], v[52:53]
	v_add_f64_e32 v[62:63], v[26:27], v[54:55]
	v_add_f64_e32 v[64:65], v[28:29], v[24:25]
	v_add_f64_e64 v[42:43], v[22:23], -v[44:45]
	v_add_f64_e64 v[20:21], v[30:31], -v[52:53]
	;; [unrolled: 1-line block ×4, first 2 shown]
	ds_store_2addr_b64 v89, v[46:47], v[58:59] offset1:3
	ds_store_2addr_b64 v89, v[60:61], v[62:63] offset0:6 offset1:9
	ds_store_2addr_b64 v89, v[64:65], v[56:57] offset0:12 offset1:15
	ds_store_2addr_b64 v89, v[42:43], v[20:21] offset0:18 offset1:21
	ds_store_2addr_b64 v89, v[22:23], v[4:5] offset0:24 offset1:27
	global_wb scope:SCOPE_SE
	s_wait_dscnt 0x0
	s_barrier_signal -1
	s_barrier_wait -1
	global_inv scope:SCOPE_SE
	ds_load_2addr_b64 v[24:27], v85 offset0:90 offset1:180
	ds_load_2addr_b64 v[28:31], v48 offset0:14 offset1:104
	ds_load_b64 v[44:45], v86
	ds_load_b64 v[46:47], v85 offset:3600
	s_and_saveexec_b32 s2, s1
	s_cbranch_execz .LBB0_23
; %bb.22:
	ds_load_2addr_b64 v[20:23], v85 offset0:144 offset1:234
	ds_load_2addr_b64 v[4:7], v48 offset0:68 offset1:158
	ds_load_b64 v[42:43], v87
	ds_load_b64 v[36:37], v85 offset:4032
.LBB0_23:
	s_wait_alu 0xfffe
	s_or_b32 exec_lo, exec_lo, s2
	v_dual_mov_b32 v49, 0 :: v_dual_and_b32 v48, 0xff, v82
	v_cmp_gt_u32_e64 s2, 30, v74
	s_mov_b32 s7, 0xbfebb67a
	s_delay_alu instid0(VALU_DEP_2) | instskip(NEXT) | instid1(VALU_DEP_1)
	v_mul_lo_u16 v48, 0x89, v48
	v_lshrrev_b16 v117, 12, v48
	v_subrev_nc_u32_e32 v48, 30, v74
	s_delay_alu instid0(VALU_DEP_2) | instskip(SKIP_1) | instid1(VALU_DEP_2)
	v_mul_lo_u16 v52, v117, 30
	s_wait_alu 0xf1ff
	v_cndmask_b32_e64 v118, v48, v74, s2
	s_delay_alu instid0(VALU_DEP_2) | instskip(NEXT) | instid1(VALU_DEP_2)
	v_sub_nc_u16 v52, v82, v52
	v_mul_i32_i24_e32 v48, 5, v118
	s_delay_alu instid0(VALU_DEP_2) | instskip(NEXT) | instid1(VALU_DEP_2)
	v_and_b32_e32 v119, 0xff, v52
	v_lshlrev_b64_e32 v[48:49], 4, v[48:49]
	s_delay_alu instid0(VALU_DEP_2) | instskip(NEXT) | instid1(VALU_DEP_2)
	v_mul_u32_u24_e32 v52, 5, v119
	v_add_co_u32 v48, s2, s4, v48
	s_wait_alu 0xf1ff
	s_delay_alu instid0(VALU_DEP_3) | instskip(NEXT) | instid1(VALU_DEP_3)
	v_add_co_ci_u32_e64 v49, s2, s5, v49, s2
	v_lshlrev_b32_e32 v72, 4, v52
	s_mov_b32 s2, 0xe8584caa
	s_clause 0x9
	global_load_b128 v[52:55], v[48:49], off offset:464
	global_load_b128 v[56:59], v[48:49], off offset:496
	global_load_b128 v[60:63], v72, s[4:5] offset:464
	global_load_b128 v[64:67], v72, s[4:5] offset:496
	global_load_b128 v[68:71], v[48:49], off offset:432
	global_load_b128 v[89:92], v72, s[4:5] offset:432
	global_load_b128 v[93:96], v[48:49], off offset:448
	global_load_b128 v[97:100], v[48:49], off offset:480
	global_load_b128 v[101:104], v72, s[4:5] offset:448
	global_load_b128 v[105:108], v72, s[4:5] offset:480
	s_mov_b32 s3, 0x3febb67a
	s_wait_alu 0xfffe
	s_mov_b32 s6, s2
	global_wb scope:SCOPE_SE
	s_wait_loadcnt_dscnt 0x0
	s_barrier_signal -1
	s_barrier_wait -1
	global_inv scope:SCOPE_SE
	v_mul_f64_e32 v[48:49], v[28:29], v[54:55]
	v_mul_f64_e32 v[54:55], v[16:17], v[54:55]
	;; [unrolled: 1-line block ×12, first 2 shown]
	v_fma_f64 v[16:17], v[16:17], v[52:53], -v[48:49]
	v_fma_f64 v[48:49], v[28:29], v[52:53], v[54:55]
	v_fma_f64 v[28:29], v[46:47], v[56:57], v[72:73]
	v_fma_f64 v[40:41], v[40:41], v[56:57], -v[58:59]
	v_fma_f64 v[0:1], v[0:1], v[60:61], -v[109:110]
	v_fma_f64 v[46:47], v[4:5], v[60:61], v[62:63]
	v_fma_f64 v[4:5], v[36:37], v[64:65], v[111:112]
	v_fma_f64 v[36:37], v[34:35], v[64:65], -v[66:67]
	v_mul_f64_e32 v[34:35], v[26:27], v[95:96]
	v_mul_f64_e32 v[52:53], v[30:31], v[99:100]
	;; [unrolled: 1-line block ×4, first 2 shown]
	v_fma_f64 v[12:13], v[12:13], v[68:69], -v[113:114]
	v_fma_f64 v[24:25], v[24:25], v[68:69], v[70:71]
	v_fma_f64 v[8:9], v[8:9], v[89:90], -v[115:116]
	v_fma_f64 v[20:21], v[20:21], v[89:90], v[91:92]
	v_mul_f64_e32 v[70:71], v[14:15], v[95:96]
	v_mul_f64_e32 v[72:73], v[18:19], v[99:100]
	;; [unrolled: 1-line block ×4, first 2 shown]
	v_add_f64_e32 v[62:63], v[48:49], v[28:29]
	v_add_f64_e32 v[64:65], v[16:17], v[40:41]
	;; [unrolled: 1-line block ×4, first 2 shown]
	v_fma_f64 v[56:57], v[14:15], v[93:94], -v[34:35]
	v_fma_f64 v[60:61], v[18:19], v[97:98], -v[52:53]
	;; [unrolled: 1-line block ×4, first 2 shown]
	v_add_f64_e64 v[2:3], v[48:49], -v[28:29]
	v_add_f64_e64 v[10:11], v[16:17], -v[40:41]
	;; [unrolled: 1-line block ×4, first 2 shown]
	v_add_f64_e32 v[0:1], v[8:9], v[0:1]
	v_fma_f64 v[6:7], v[6:7], v[105:106], v[91:92]
	v_fma_f64 v[14:15], v[62:63], -0.5, v[24:25]
	v_fma_f64 v[18:19], v[64:65], -0.5, v[12:13]
	v_fma_f64 v[64:65], v[26:27], v[93:94], v[70:71]
	v_fma_f64 v[26:27], v[30:31], v[97:98], v[72:73]
	v_fma_f64 v[103:104], v[66:67], -0.5, v[20:21]
	v_fma_f64 v[66:67], v[68:69], -0.5, v[8:9]
	v_fma_f64 v[62:63], v[22:23], v[101:102], v[89:90]
	v_add_f64_e32 v[68:69], v[56:57], v[60:61]
	v_add_f64_e32 v[89:90], v[38:39], v[56:57]
	;; [unrolled: 1-line block ×5, first 2 shown]
	s_wait_alu 0xfffe
	v_fma_f64 v[30:31], v[10:11], s[6:7], v[14:15]
	v_fma_f64 v[58:59], v[2:3], s[6:7], v[18:19]
	;; [unrolled: 1-line block ×3, first 2 shown]
	v_add_f64_e64 v[91:92], v[64:65], -v[26:27]
	v_fma_f64 v[22:23], v[99:100], s[6:7], v[103:104]
	v_fma_f64 v[54:55], v[95:96], s[6:7], v[66:67]
	v_add_f64_e64 v[93:94], v[62:63], -v[6:7]
	v_fma_f64 v[38:39], v[68:69], -0.5, v[38:39]
	v_fma_f64 v[66:67], v[95:96], s[2:3], v[66:67]
	v_fma_f64 v[32:33], v[70:71], -0.5, v[32:33]
	v_fma_f64 v[70:71], v[2:3], s[2:3], v[18:19]
	v_fma_f64 v[68:69], v[99:100], s[2:3], v[103:104]
	v_add_f64_e32 v[89:90], v[89:90], v[60:61]
	v_add_f64_e32 v[40:41], v[12:13], v[40:41]
	;; [unrolled: 1-line block ×4, first 2 shown]
	v_mul_f64_e32 v[2:3], s[2:3], v[30:31]
	v_mul_f64_e32 v[14:15], -0.5, v[58:59]
	v_mul_f64_e32 v[18:19], s[2:3], v[22:23]
	v_mul_f64_e32 v[95:96], -0.5, v[54:55]
	v_fma_f64 v[36:37], v[91:92], s[2:3], v[38:39]
	v_fma_f64 v[38:39], v[91:92], s[6:7], v[38:39]
	;; [unrolled: 1-line block ×3, first 2 shown]
	v_add_f64_e64 v[0:1], v[8:9], -v[10:11]
	v_fma_f64 v[2:3], v[70:71], 0.5, v[2:3]
	v_fma_f64 v[91:92], v[72:73], s[2:3], v[14:15]
	v_fma_f64 v[14:15], v[93:94], s[2:3], v[32:33]
	v_add_f64_e32 v[93:94], v[89:90], v[40:41]
	v_fma_f64 v[18:19], v[66:67], 0.5, v[18:19]
	v_fma_f64 v[16:17], v[68:69], s[2:3], v[95:96]
	v_add_f64_e64 v[40:41], v[89:90], -v[40:41]
	v_cmp_lt_u32_e64 s2, 29, v74
	v_lshlrev_b32_e32 v90, 3, v118
	s_wait_alu 0xf1ff
	s_delay_alu instid0(VALU_DEP_2) | instskip(NEXT) | instid1(VALU_DEP_1)
	v_cndmask_b32_e64 v89, 0, 0x5a0, s2
	v_add_nc_u32_e32 v89, 0, v89
	v_add_f64_e32 v[95:96], v[36:37], v[2:3]
	v_add_f64_e64 v[36:37], v[36:37], -v[2:3]
	v_add_f64_e32 v[97:98], v[38:39], v[91:92]
	v_add_f64_e64 v[38:39], v[38:39], -v[91:92]
	v_add_f64_e64 v[2:3], v[14:15], -v[18:19]
	v_add_f64_e64 v[32:33], v[12:13], -v[16:17]
	v_add3_u32 v91, v89, v90, v84
	v_and_b32_e32 v89, 0xffff, v117
	v_lshlrev_b32_e32 v90, 3, v119
	ds_store_2addr_b64 v91, v[93:94], v[95:96] offset1:30
	ds_store_2addr_b64 v91, v[97:98], v[40:41] offset0:60 offset1:90
	ds_store_2addr_b64 v91, v[36:37], v[38:39] offset0:120 offset1:150
	s_and_saveexec_b32 s2, s1
	s_cbranch_execz .LBB0_25
; %bb.24:
	v_add_f64_e32 v[14:15], v[14:15], v[18:19]
	v_add_f64_e32 v[8:9], v[8:9], v[10:11]
	;; [unrolled: 1-line block ×3, first 2 shown]
	v_mad_u32_u24 v12, 0x5a0, v89, 0
	s_delay_alu instid0(VALU_DEP_1)
	v_add3_u32 v12, v12, v90, v84
	ds_store_2addr_b64 v12, v[8:9], v[14:15] offset1:30
	ds_store_2addr_b64 v12, v[10:11], v[0:1] offset0:60 offset1:90
	ds_store_2addr_b64 v12, v[2:3], v[32:33] offset0:120 offset1:150
.LBB0_25:
	s_wait_alu 0xfffe
	s_or_b32 exec_lo, exec_lo, s2
	v_add_nc_u32_e32 v12, 0x800, v85
	global_wb scope:SCOPE_SE
	s_wait_dscnt 0x0
	s_barrier_signal -1
	s_barrier_wait -1
	global_inv scope:SCOPE_SE
	ds_load_2addr_b64 v[8:11], v85 offset0:180 offset1:234
	ds_load_2addr_b64 v[16:19], v12 offset0:32 offset1:104
	;; [unrolled: 1-line block ×3, first 2 shown]
	ds_load_b64 v[40:41], v86
	ds_load_b64 v[38:39], v87
	;; [unrolled: 1-line block ×3, first 2 shown]
	s_and_saveexec_b32 s2, s0
	s_cbranch_execz .LBB0_27
; %bb.26:
	v_add_nc_u32_e32 v0, 0x400, v85
	ds_load_2addr_b64 v[0:3], v0 offset0:34 offset1:214
	ds_load_b64 v[32:33], v85 offset:4176
.LBB0_27:
	s_wait_alu 0xfffe
	s_or_b32 exec_lo, exec_lo, s2
	v_add_f64_e32 v[92:93], v[64:65], v[26:27]
	v_add_f64_e32 v[94:95], v[62:63], v[6:7]
	s_mov_b32 s2, 0xe8584caa
	s_mov_b32 s3, 0xbfebb67a
	v_add_f64_e32 v[64:65], v[44:45], v[64:65]
	v_add_f64_e64 v[56:57], v[56:57], -v[60:61]
	v_add_f64_e32 v[24:25], v[24:25], v[48:49]
	v_add_f64_e32 v[60:61], v[42:43], v[62:63]
	;; [unrolled: 1-line block ×3, first 2 shown]
	s_wait_alu 0xfffe
	v_mul_f64_e32 v[62:63], s[2:3], v[70:71]
	v_add_f64_e64 v[34:35], v[34:35], -v[52:53]
	v_mul_f64_e32 v[52:53], -0.5, v[68:69]
	v_mul_f64_e32 v[66:67], s[2:3], v[66:67]
	v_mul_f64_e32 v[48:49], -0.5, v[72:73]
	s_mov_b32 s7, 0x3febb67a
	s_mov_b32 s6, s2
	global_wb scope:SCOPE_SE
	s_wait_dscnt 0x0
	s_barrier_signal -1
	s_barrier_wait -1
	global_inv scope:SCOPE_SE
	v_fma_f64 v[44:45], v[92:93], -0.5, v[44:45]
	v_fma_f64 v[42:43], v[94:95], -0.5, v[42:43]
	v_add_f64_e32 v[64:65], v[64:65], v[26:27]
	v_add_f64_e32 v[68:69], v[24:25], v[28:29]
	;; [unrolled: 1-line block ×4, first 2 shown]
	v_fma_f64 v[6:7], v[30:31], 0.5, v[62:63]
	v_fma_f64 v[26:27], v[54:55], s[2:3], v[52:53]
	v_fma_f64 v[22:23], v[22:23], 0.5, v[66:67]
	v_fma_f64 v[48:49], v[58:59], s[2:3], v[48:49]
	v_fma_f64 v[46:47], v[56:57], s[2:3], v[44:45]
	;; [unrolled: 1-line block ×3, first 2 shown]
	s_wait_alu 0xfffe
	v_fma_f64 v[30:31], v[34:35], s[6:7], v[42:43]
	v_fma_f64 v[44:45], v[56:57], s[6:7], v[44:45]
	v_add_f64_e32 v[42:43], v[64:65], v[68:69]
	v_add_f64_e64 v[52:53], v[64:65], -v[68:69]
	v_add_f64_e64 v[4:5], v[20:21], -v[24:25]
	v_add_f64_e32 v[54:55], v[46:47], v[6:7]
	v_add_f64_e64 v[46:47], v[46:47], -v[6:7]
	v_add_f64_e64 v[6:7], v[28:29], -v[22:23]
	;; [unrolled: 1-line block ×3, first 2 shown]
	v_add_f64_e32 v[56:57], v[44:45], v[48:49]
	v_add_f64_e64 v[44:45], v[44:45], -v[48:49]
	ds_store_2addr_b64 v91, v[42:43], v[54:55] offset1:30
	ds_store_2addr_b64 v91, v[56:57], v[52:53] offset0:60 offset1:90
	ds_store_2addr_b64 v91, v[46:47], v[44:45] offset0:120 offset1:150
	s_and_saveexec_b32 s2, s1
	s_cbranch_execz .LBB0_29
; %bb.28:
	v_add_f64_e32 v[20:21], v[20:21], v[24:25]
	v_add_f64_e32 v[22:23], v[28:29], v[22:23]
	;; [unrolled: 1-line block ×3, first 2 shown]
	v_mad_u32_u24 v26, 0x5a0, v89, 0
	s_delay_alu instid0(VALU_DEP_1)
	v_add3_u32 v26, v26, v90, v84
	ds_store_2addr_b64 v26, v[20:21], v[22:23] offset1:30
	ds_store_2addr_b64 v26, v[24:25], v[4:5] offset0:60 offset1:90
	ds_store_2addr_b64 v26, v[6:7], v[34:35] offset0:120 offset1:150
.LBB0_29:
	s_wait_alu 0xfffe
	s_or_b32 exec_lo, exec_lo, s2
	v_add_nc_u32_e32 v28, 0x800, v85
	global_wb scope:SCOPE_SE
	s_wait_dscnt 0x0
	s_barrier_signal -1
	s_barrier_wait -1
	global_inv scope:SCOPE_SE
	ds_load_2addr_b64 v[20:23], v85 offset0:180 offset1:234
	ds_load_2addr_b64 v[24:27], v28 offset0:32 offset1:104
	ds_load_2addr_b64 v[28:31], v28 offset0:158 offset1:212
	ds_load_b64 v[44:45], v86
	ds_load_b64 v[46:47], v87
	;; [unrolled: 1-line block ×3, first 2 shown]
	s_and_saveexec_b32 s1, s0
	s_cbranch_execz .LBB0_31
; %bb.30:
	v_add_nc_u32_e32 v4, 0x400, v85
	ds_load_2addr_b64 v[4:7], v4 offset0:34 offset1:214
	ds_load_b64 v[34:35], v85 offset:4176
.LBB0_31:
	s_wait_alu 0xfffe
	s_or_b32 exec_lo, exec_lo, s1
	s_and_saveexec_b32 s1, vcc_lo
	s_cbranch_execz .LBB0_34
; %bb.32:
	v_dual_mov_b32 v43, 0 :: v_dual_lshlrev_b32 v42, 1, v83
	v_mad_co_u64_u32 v[96:97], null, s8, v74, 0
	s_mov_b32 s2, 0xe8584caa
	s_mov_b32 s3, 0x3febb67a
	s_delay_alu instid0(VALU_DEP_2) | instskip(SKIP_4) | instid1(VALU_DEP_1)
	v_lshlrev_b64_e32 v[52:53], 4, v[42:43]
	v_lshlrev_b32_e32 v42, 1, v82
	s_mov_b32 s7, 0xbfebb67a
	s_wait_alu 0xfffe
	s_mov_b32 s6, s2
	v_lshlrev_b64_e32 v[54:55], 4, v[42:43]
	v_lshlrev_b32_e32 v42, 1, v74
	v_add_co_u32 v56, vcc_lo, s4, v52
	s_wait_alu 0xfffd
	v_add_co_ci_u32_e32 v57, vcc_lo, s5, v53, vcc_lo
	s_delay_alu instid0(VALU_DEP_3) | instskip(SKIP_4) | instid1(VALU_DEP_4)
	v_lshlrev_b64_e32 v[52:53], 4, v[42:43]
	v_add_co_u32 v64, vcc_lo, s4, v54
	s_wait_alu 0xfffd
	v_add_co_ci_u32_e32 v65, vcc_lo, s5, v55, vcc_lo
	v_lshrrev_b32_e32 v42, 2, v75
	v_add_co_u32 v72, vcc_lo, s4, v52
	s_wait_alu 0xfffd
	v_add_co_ci_u32_e32 v73, vcc_lo, s5, v53, vcc_lo
	s_clause 0x5
	global_load_b128 v[52:55], v[56:57], off offset:2832
	global_load_b128 v[56:59], v[56:57], off offset:2848
	;; [unrolled: 1-line block ×6, first 2 shown]
	s_wait_loadcnt 0x5
	v_mul_f64_e32 v[72:73], v[16:17], v[54:55]
	s_wait_loadcnt 0x4
	v_mul_f64_e32 v[86:87], v[14:15], v[58:59]
	s_wait_dscnt 0x3
	v_mul_f64_e32 v[58:59], v[30:31], v[58:59]
	s_wait_loadcnt 0x3
	v_mul_f64_e32 v[88:89], v[10:11], v[62:63]
	s_wait_loadcnt 0x1
	v_mul_f64_e32 v[92:93], v[20:21], v[70:71]
	s_wait_loadcnt 0x0
	v_mul_f64_e32 v[94:95], v[26:27], v[84:85]
	v_mul_f64_e32 v[70:71], v[8:9], v[70:71]
	;; [unrolled: 1-line block ×7, first 2 shown]
	v_fma_f64 v[24:25], v[24:25], v[52:53], v[72:73]
	v_fma_f64 v[30:31], v[30:31], v[56:57], v[86:87]
	v_fma_f64 v[14:15], v[14:15], v[56:57], -v[58:59]
	v_fma_f64 v[22:23], v[22:23], v[60:61], v[88:89]
	v_fma_f64 v[72:73], v[8:9], v[68:69], -v[92:93]
	v_fma_f64 v[18:19], v[18:19], v[82:83], -v[94:95]
	v_fma_f64 v[20:21], v[20:21], v[68:69], v[70:71]
	v_fma_f64 v[26:27], v[26:27], v[82:83], v[84:85]
	v_add_co_u32 v8, vcc_lo, s10, v50
	v_fma_f64 v[28:29], v[28:29], v[64:65], v[90:91]
	s_wait_alu 0xfffd
	v_add_co_ci_u32_e32 v9, vcc_lo, s11, v51, vcc_lo
	v_fma_f64 v[10:11], v[10:11], v[60:61], -v[62:63]
	v_fma_f64 v[50:51], v[12:13], v[64:65], -v[66:67]
	;; [unrolled: 1-line block ×3, first 2 shown]
	v_mad_co_u64_u32 v[12:13], null, s8, v79, 0
	v_mul_hi_u32 v65, 0x16c16c17, v42
	v_mov_b32_e32 v42, v97
	v_mad_co_u64_u32 v[52:53], null, s8, v80, 0
	v_mad_co_u64_u32 v[54:55], null, s8, v76, 0
	;; [unrolled: 1-line block ×5, first 2 shown]
	s_delay_alu instid0(VALU_DEP_1)
	v_mov_b32_e32 v97, v60
	s_wait_dscnt 0x0
	v_add_f64_e32 v[86:87], v[48:49], v[24:25]
	v_mad_co_u64_u32 v[61:62], null, s9, v79, v[13:14]
	v_mad_co_u64_u32 v[62:63], null, s9, v80, v[53:54]
	;; [unrolled: 1-line block ×3, first 2 shown]
	v_lshrrev_b32_e32 v13, 2, v65
	v_add_f64_e32 v[64:65], v[24:25], v[30:31]
	v_add_f64_e32 v[68:69], v[20:21], v[26:27]
	;; [unrolled: 1-line block ×3, first 2 shown]
	v_mov_b32_e32 v53, v62
	v_mad_co_u64_u32 v[76:77], null, s9, v77, v[57:58]
	v_mad_co_u64_u32 v[77:78], null, s9, v78, v[59:60]
	v_add_f64_e32 v[66:67], v[22:23], v[28:29]
	v_add_f64_e32 v[78:79], v[10:11], v[50:51]
	;; [unrolled: 1-line block ×3, first 2 shown]
	v_mad_u32_u24 v42, 0x168, v13, v75
	v_mov_b32_e32 v55, v63
	v_lshlrev_b64_e32 v[62:63], 4, v[96:97]
	v_add_f64_e64 v[94:95], v[72:73], -v[18:19]
	v_add_f64_e32 v[96:97], v[44:45], v[20:21]
	v_add_nc_u32_e32 v104, 0xb4, v42
	v_add_f64_e32 v[72:73], v[40:41], v[72:73]
	v_add_f64_e64 v[84:85], v[16:17], -v[14:15]
	v_add_f64_e32 v[16:17], v[36:37], v[16:17]
	v_add_f64_e32 v[90:91], v[46:47], v[22:23]
	;; [unrolled: 1-line block ×3, first 2 shown]
	v_add_f64_e64 v[88:89], v[10:11], -v[50:51]
	v_add_f64_e64 v[22:23], v[22:23], -v[28:29]
	v_mov_b32_e32 v13, v61
	v_mad_co_u64_u32 v[60:61], null, s8, v42, 0
	v_mov_b32_e32 v57, v76
	v_mad_co_u64_u32 v[75:76], null, s8, v104, 0
	v_mov_b32_e32 v59, v77
	v_lshlrev_b64_e32 v[12:13], 4, v[12:13]
	v_dual_mov_b32 v10, v61 :: v_dual_add_nc_u32 v105, 0x168, v42
	v_add_co_u32 v62, vcc_lo, v8, v62
	v_lshlrev_b64_e32 v[52:53], 4, v[52:53]
	s_wait_alu 0xfffd
	v_add_co_ci_u32_e32 v63, vcc_lo, v9, v63, vcc_lo
	v_fma_f64 v[48:49], v[64:65], -0.5, v[48:49]
	v_add_f64_e64 v[64:65], v[20:21], -v[26:27]
	v_fma_f64 v[44:45], v[68:69], -0.5, v[44:45]
	v_fma_f64 v[40:41], v[70:71], -0.5, v[40:41]
	v_mad_co_u64_u32 v[102:103], null, s9, v42, v[10:11]
	v_mov_b32_e32 v42, v76
	v_fma_f64 v[66:67], v[66:67], -0.5, v[46:47]
	v_fma_f64 v[70:71], v[78:79], -0.5, v[38:39]
	v_add_f64_e64 v[77:78], v[24:25], -v[30:31]
	v_fma_f64 v[79:80], v[82:83], -0.5, v[36:37]
	v_add_co_u32 v82, vcc_lo, v8, v12
	v_lshlrev_b64_e32 v[54:55], 4, v[54:55]
	s_wait_alu 0xfffd
	v_add_co_ci_u32_e32 v83, vcc_lo, v9, v13, vcc_lo
	v_add_f64_e32 v[12:13], v[86:87], v[30:31]
	v_mad_co_u64_u32 v[30:31], null, s9, v104, v[42:43]
	v_add_co_u32 v98, vcc_lo, v8, v52
	v_add_f64_e32 v[20:21], v[96:97], v[26:27]
	v_add_f64_e32 v[18:19], v[72:73], v[18:19]
	s_wait_alu 0xfffd
	v_add_co_ci_u32_e32 v99, vcc_lo, v9, v53, vcc_lo
	v_mov_b32_e32 v76, v30
	v_add_f64_e32 v[10:11], v[16:17], v[14:15]
	v_add_f64_e32 v[16:17], v[90:91], v[28:29]
	;; [unrolled: 1-line block ×3, first 2 shown]
	v_add_co_u32 v100, vcc_lo, v8, v54
	v_mad_co_u64_u32 v[68:69], null, s8, v105, 0
	s_wait_alu 0xfffd
	v_add_co_ci_u32_e32 v101, vcc_lo, v9, v55, vcc_lo
	v_lshlrev_b64_e32 v[56:57], 4, v[56:57]
	v_lshlrev_b64_e32 v[58:59], 4, v[58:59]
	v_fma_f64 v[24:25], v[84:85], s[2:3], v[48:49]
	s_wait_alu 0xfffe
	v_fma_f64 v[28:29], v[84:85], s[6:7], v[48:49]
	v_fma_f64 v[50:51], v[94:95], s[6:7], v[44:45]
	;; [unrolled: 1-line block ×5, first 2 shown]
	v_mov_b32_e32 v61, v69
	v_fma_f64 v[54:55], v[88:89], s[6:7], v[66:67]
	v_fma_f64 v[52:53], v[22:23], s[2:3], v[70:71]
	;; [unrolled: 1-line block ×6, first 2 shown]
	v_mad_co_u64_u32 v[40:41], null, s9, v105, v[61:62]
	v_mov_b32_e32 v61, v102
	v_add_co_u32 v41, vcc_lo, v8, v56
	s_wait_alu 0xfffd
	v_add_co_ci_u32_e32 v42, vcc_lo, v9, v57, vcc_lo
	s_delay_alu instid0(VALU_DEP_3)
	v_lshlrev_b64_e32 v[56:57], 4, v[60:61]
	v_mov_b32_e32 v69, v40
	v_add_co_u32 v30, vcc_lo, v8, v58
	s_wait_alu 0xfffd
	v_add_co_ci_u32_e32 v31, vcc_lo, v9, v59, vcc_lo
	v_lshlrev_b64_e32 v[58:59], 4, v[75:76]
	v_lshlrev_b64_e32 v[60:61], 4, v[68:69]
	v_add_co_u32 v56, vcc_lo, v8, v56
	s_wait_alu 0xfffd
	v_add_co_ci_u32_e32 v57, vcc_lo, v9, v57, vcc_lo
	s_delay_alu instid0(VALU_DEP_4)
	v_add_co_u32 v58, vcc_lo, v8, v58
	s_wait_alu 0xfffd
	v_add_co_ci_u32_e32 v59, vcc_lo, v9, v59, vcc_lo
	v_add_co_u32 v60, vcc_lo, v8, v60
	s_wait_alu 0xfffd
	v_add_co_ci_u32_e32 v61, vcc_lo, v9, v61, vcc_lo
	s_clause 0x8
	global_store_b128 v[62:63], v[18:21], off
	global_store_b128 v[82:83], v[48:51], off
	;; [unrolled: 1-line block ×9, first 2 shown]
	s_and_b32 exec_lo, exec_lo, s0
	s_cbranch_execz .LBB0_34
; %bb.33:
	v_subrev_nc_u32_e32 v10, 18, v74
	v_add_nc_u32_e32 v30, 0x156, v74
	v_mad_co_u64_u32 v[24:25], null, s8, v81, 0
	s_delay_alu instid0(VALU_DEP_3) | instskip(NEXT) | instid1(VALU_DEP_3)
	v_cndmask_b32_e64 v10, v10, v81, s0
	v_mad_co_u64_u32 v[26:27], null, s8, v30, 0
	v_add_nc_u32_e32 v31, 0x20a, v74
	s_delay_alu instid0(VALU_DEP_1) | instskip(NEXT) | instid1(VALU_DEP_4)
	v_mad_co_u64_u32 v[28:29], null, s8, v31, 0
	v_lshlrev_b32_e32 v42, 1, v10
	s_delay_alu instid0(VALU_DEP_1) | instskip(NEXT) | instid1(VALU_DEP_1)
	v_lshlrev_b64_e32 v[10:11], 4, v[42:43]
	v_add_co_u32 v14, vcc_lo, s4, v10
	s_wait_alu 0xfffd
	s_delay_alu instid0(VALU_DEP_2)
	v_add_co_ci_u32_e32 v15, vcc_lo, s5, v11, vcc_lo
	s_clause 0x1
	global_load_b128 v[10:13], v[14:15], off offset:2832
	global_load_b128 v[14:17], v[14:15], off offset:2848
	s_wait_loadcnt 0x1
	v_mul_f64_e32 v[18:19], v[6:7], v[12:13]
	s_wait_loadcnt 0x0
	v_mul_f64_e32 v[20:21], v[34:35], v[16:17]
	v_mul_f64_e32 v[12:13], v[2:3], v[12:13]
	;; [unrolled: 1-line block ×3, first 2 shown]
	s_delay_alu instid0(VALU_DEP_4) | instskip(NEXT) | instid1(VALU_DEP_4)
	v_fma_f64 v[2:3], v[2:3], v[10:11], -v[18:19]
	v_fma_f64 v[18:19], v[32:33], v[14:15], -v[20:21]
	s_delay_alu instid0(VALU_DEP_4) | instskip(NEXT) | instid1(VALU_DEP_4)
	v_fma_f64 v[6:7], v[6:7], v[10:11], v[12:13]
	v_fma_f64 v[10:11], v[34:35], v[14:15], v[16:17]
	s_delay_alu instid0(VALU_DEP_4) | instskip(NEXT) | instid1(VALU_DEP_4)
	v_add_f64_e32 v[16:17], v[0:1], v[2:3]
	v_add_f64_e32 v[12:13], v[2:3], v[18:19]
	v_add_f64_e64 v[22:23], v[2:3], -v[18:19]
	s_delay_alu instid0(VALU_DEP_4)
	v_add_f64_e32 v[14:15], v[6:7], v[10:11]
	v_add_f64_e64 v[20:21], v[6:7], -v[10:11]
	v_add_f64_e32 v[6:7], v[4:5], v[6:7]
	v_fma_f64 v[12:13], v[12:13], -0.5, v[0:1]
	v_add_f64_e32 v[0:1], v[16:17], v[18:19]
	v_fma_f64 v[14:15], v[14:15], -0.5, v[4:5]
	v_mad_co_u64_u32 v[16:17], null, s9, v81, v[25:26]
	v_add_f64_e32 v[2:3], v[6:7], v[10:11]
	s_delay_alu instid0(VALU_DEP_2)
	v_mov_b32_e32 v25, v16
	v_fma_f64 v[4:5], v[20:21], s[2:3], v[12:13]
	v_fma_f64 v[10:11], v[20:21], s[6:7], v[12:13]
	;; [unrolled: 1-line block ×4, first 2 shown]
	v_dual_mov_b32 v15, v29 :: v_dual_mov_b32 v14, v27
	s_delay_alu instid0(VALU_DEP_1) | instskip(SKIP_1) | instid1(VALU_DEP_2)
	v_mad_co_u64_u32 v[17:18], null, s9, v30, v[14:15]
	v_mad_co_u64_u32 v[14:15], null, s9, v31, v[15:16]
	v_mov_b32_e32 v27, v17
	s_delay_alu instid0(VALU_DEP_2) | instskip(SKIP_1) | instid1(VALU_DEP_3)
	v_mov_b32_e32 v29, v14
	v_lshlrev_b64_e32 v[14:15], 4, v[24:25]
	v_lshlrev_b64_e32 v[16:17], 4, v[26:27]
	s_delay_alu instid0(VALU_DEP_3) | instskip(NEXT) | instid1(VALU_DEP_3)
	v_lshlrev_b64_e32 v[18:19], 4, v[28:29]
	v_add_co_u32 v14, vcc_lo, v8, v14
	s_wait_alu 0xfffd
	s_delay_alu instid0(VALU_DEP_4) | instskip(NEXT) | instid1(VALU_DEP_4)
	v_add_co_ci_u32_e32 v15, vcc_lo, v9, v15, vcc_lo
	v_add_co_u32 v16, vcc_lo, v8, v16
	s_wait_alu 0xfffd
	v_add_co_ci_u32_e32 v17, vcc_lo, v9, v17, vcc_lo
	v_add_co_u32 v8, vcc_lo, v8, v18
	s_wait_alu 0xfffd
	v_add_co_ci_u32_e32 v9, vcc_lo, v9, v19, vcc_lo
	s_clause 0x2
	global_store_b128 v[14:15], v[0:3], off
	global_store_b128 v[16:17], v[4:7], off
	;; [unrolled: 1-line block ×3, first 2 shown]
.LBB0_34:
	s_nop 0
	s_sendmsg sendmsg(MSG_DEALLOC_VGPRS)
	s_endpgm
	.section	.rodata,"a",@progbits
	.p2align	6, 0x0
	.amdhsa_kernel fft_rtc_fwd_len540_factors_3_10_6_3_wgs_216_tpt_54_halfLds_dp_ip_CI_sbrr_dirReg
		.amdhsa_group_segment_fixed_size 0
		.amdhsa_private_segment_fixed_size 0
		.amdhsa_kernarg_size 88
		.amdhsa_user_sgpr_count 2
		.amdhsa_user_sgpr_dispatch_ptr 0
		.amdhsa_user_sgpr_queue_ptr 0
		.amdhsa_user_sgpr_kernarg_segment_ptr 1
		.amdhsa_user_sgpr_dispatch_id 0
		.amdhsa_user_sgpr_private_segment_size 0
		.amdhsa_wavefront_size32 1
		.amdhsa_uses_dynamic_stack 0
		.amdhsa_enable_private_segment 0
		.amdhsa_system_sgpr_workgroup_id_x 1
		.amdhsa_system_sgpr_workgroup_id_y 0
		.amdhsa_system_sgpr_workgroup_id_z 0
		.amdhsa_system_sgpr_workgroup_info 0
		.amdhsa_system_vgpr_workitem_id 0
		.amdhsa_next_free_vgpr 120
		.amdhsa_next_free_sgpr 35
		.amdhsa_reserve_vcc 1
		.amdhsa_float_round_mode_32 0
		.amdhsa_float_round_mode_16_64 0
		.amdhsa_float_denorm_mode_32 3
		.amdhsa_float_denorm_mode_16_64 3
		.amdhsa_fp16_overflow 0
		.amdhsa_workgroup_processor_mode 1
		.amdhsa_memory_ordered 1
		.amdhsa_forward_progress 0
		.amdhsa_round_robin_scheduling 0
		.amdhsa_exception_fp_ieee_invalid_op 0
		.amdhsa_exception_fp_denorm_src 0
		.amdhsa_exception_fp_ieee_div_zero 0
		.amdhsa_exception_fp_ieee_overflow 0
		.amdhsa_exception_fp_ieee_underflow 0
		.amdhsa_exception_fp_ieee_inexact 0
		.amdhsa_exception_int_div_zero 0
	.end_amdhsa_kernel
	.text
.Lfunc_end0:
	.size	fft_rtc_fwd_len540_factors_3_10_6_3_wgs_216_tpt_54_halfLds_dp_ip_CI_sbrr_dirReg, .Lfunc_end0-fft_rtc_fwd_len540_factors_3_10_6_3_wgs_216_tpt_54_halfLds_dp_ip_CI_sbrr_dirReg
                                        ; -- End function
	.section	.AMDGPU.csdata,"",@progbits
; Kernel info:
; codeLenInByte = 8552
; NumSgprs: 37
; NumVgprs: 120
; ScratchSize: 0
; MemoryBound: 1
; FloatMode: 240
; IeeeMode: 1
; LDSByteSize: 0 bytes/workgroup (compile time only)
; SGPRBlocks: 4
; VGPRBlocks: 14
; NumSGPRsForWavesPerEU: 37
; NumVGPRsForWavesPerEU: 120
; Occupancy: 12
; WaveLimiterHint : 1
; COMPUTE_PGM_RSRC2:SCRATCH_EN: 0
; COMPUTE_PGM_RSRC2:USER_SGPR: 2
; COMPUTE_PGM_RSRC2:TRAP_HANDLER: 0
; COMPUTE_PGM_RSRC2:TGID_X_EN: 1
; COMPUTE_PGM_RSRC2:TGID_Y_EN: 0
; COMPUTE_PGM_RSRC2:TGID_Z_EN: 0
; COMPUTE_PGM_RSRC2:TIDIG_COMP_CNT: 0
	.text
	.p2alignl 7, 3214868480
	.fill 96, 4, 3214868480
	.type	__hip_cuid_6d72ab506cd4d384,@object ; @__hip_cuid_6d72ab506cd4d384
	.section	.bss,"aw",@nobits
	.globl	__hip_cuid_6d72ab506cd4d384
__hip_cuid_6d72ab506cd4d384:
	.byte	0                               ; 0x0
	.size	__hip_cuid_6d72ab506cd4d384, 1

	.ident	"AMD clang version 19.0.0git (https://github.com/RadeonOpenCompute/llvm-project roc-6.4.0 25133 c7fe45cf4b819c5991fe208aaa96edf142730f1d)"
	.section	".note.GNU-stack","",@progbits
	.addrsig
	.addrsig_sym __hip_cuid_6d72ab506cd4d384
	.amdgpu_metadata
---
amdhsa.kernels:
  - .args:
      - .actual_access:  read_only
        .address_space:  global
        .offset:         0
        .size:           8
        .value_kind:     global_buffer
      - .offset:         8
        .size:           8
        .value_kind:     by_value
      - .actual_access:  read_only
        .address_space:  global
        .offset:         16
        .size:           8
        .value_kind:     global_buffer
      - .actual_access:  read_only
        .address_space:  global
        .offset:         24
        .size:           8
        .value_kind:     global_buffer
      - .offset:         32
        .size:           8
        .value_kind:     by_value
      - .actual_access:  read_only
        .address_space:  global
        .offset:         40
        .size:           8
        .value_kind:     global_buffer
      - .actual_access:  read_only
        .address_space:  global
        .offset:         48
        .size:           8
        .value_kind:     global_buffer
      - .offset:         56
        .size:           4
        .value_kind:     by_value
      - .actual_access:  read_only
        .address_space:  global
        .offset:         64
        .size:           8
        .value_kind:     global_buffer
      - .actual_access:  read_only
        .address_space:  global
        .offset:         72
        .size:           8
        .value_kind:     global_buffer
      - .address_space:  global
        .offset:         80
        .size:           8
        .value_kind:     global_buffer
    .group_segment_fixed_size: 0
    .kernarg_segment_align: 8
    .kernarg_segment_size: 88
    .language:       OpenCL C
    .language_version:
      - 2
      - 0
    .max_flat_workgroup_size: 216
    .name:           fft_rtc_fwd_len540_factors_3_10_6_3_wgs_216_tpt_54_halfLds_dp_ip_CI_sbrr_dirReg
    .private_segment_fixed_size: 0
    .sgpr_count:     37
    .sgpr_spill_count: 0
    .symbol:         fft_rtc_fwd_len540_factors_3_10_6_3_wgs_216_tpt_54_halfLds_dp_ip_CI_sbrr_dirReg.kd
    .uniform_work_group_size: 1
    .uses_dynamic_stack: false
    .vgpr_count:     120
    .vgpr_spill_count: 0
    .wavefront_size: 32
    .workgroup_processor_mode: 1
amdhsa.target:   amdgcn-amd-amdhsa--gfx1201
amdhsa.version:
  - 1
  - 2
...

	.end_amdgpu_metadata
